;; amdgpu-corpus repo=ROCm/rocFFT kind=compiled arch=gfx1030 opt=O3
	.text
	.amdgcn_target "amdgcn-amd-amdhsa--gfx1030"
	.amdhsa_code_object_version 6
	.protected	fft_rtc_back_len54_factors_3_3_6_wgs_60_tpt_6_dim1_sp_op_CI_CI_unitstride_sbrr_R2C_dirReg ; -- Begin function fft_rtc_back_len54_factors_3_3_6_wgs_60_tpt_6_dim1_sp_op_CI_CI_unitstride_sbrr_R2C_dirReg
	.globl	fft_rtc_back_len54_factors_3_3_6_wgs_60_tpt_6_dim1_sp_op_CI_CI_unitstride_sbrr_R2C_dirReg
	.p2align	8
	.type	fft_rtc_back_len54_factors_3_3_6_wgs_60_tpt_6_dim1_sp_op_CI_CI_unitstride_sbrr_R2C_dirReg,@function
fft_rtc_back_len54_factors_3_3_6_wgs_60_tpt_6_dim1_sp_op_CI_CI_unitstride_sbrr_R2C_dirReg: ; @fft_rtc_back_len54_factors_3_3_6_wgs_60_tpt_6_dim1_sp_op_CI_CI_unitstride_sbrr_R2C_dirReg
; %bb.0:
	v_mul_u32_u24_e32 v1, 0x2aab, v0
	s_load_dwordx2 s[0:1], s[4:5], 0x20
                                        ; implicit-def: $vgpr17
                                        ; implicit-def: $vgpr16
                                        ; implicit-def: $vgpr21
	v_lshrrev_b32_e32 v1, 16, v1
	v_mad_u64_u32 v[18:19], null, s6, 10, v[1:2]
	s_load_dwordx2 s[6:7], s[4:5], 0x0
	v_mov_b32_e32 v19, 0
	v_mul_hi_u32 v2, 0xcccccccd, v18
	s_waitcnt lgkmcnt(0)
	v_cmp_gt_u64_e32 vcc_lo, s[0:1], v[18:19]
	v_cmp_le_u64_e64 s0, s[0:1], v[18:19]
                                        ; implicit-def: $vgpr19
	v_lshrrev_b32_e32 v2, 3, v2
	v_mul_lo_u32 v2, v2, 10
	v_sub_nc_u32_e32 v2, v18, v2
	s_and_saveexec_b32 s1, s0
	s_xor_b32 s0, exec_lo, s1
; %bb.1:
	v_mov_b32_e32 v1, 0x2aab
	v_mul_u32_u24_sdwa v1, v0, v1 dst_sel:DWORD dst_unused:UNUSED_PAD src0_sel:WORD_0 src1_sel:DWORD
	v_lshrrev_b32_e32 v1, 16, v1
	v_mul_lo_u16 v1, v1, 6
	v_sub_nc_u16 v17, v0, v1
                                        ; implicit-def: $vgpr1
                                        ; implicit-def: $vgpr0
	v_and_b32_e32 v16, 0xffff, v17
	v_add_nc_u32_e32 v21, 6, v16
	v_add_nc_u32_e32 v19, 12, v16
; %bb.2:
	s_or_saveexec_b32 s1, s0
	s_load_dwordx2 s[2:3], s[4:5], 0x18
	v_mul_u32_u24_e32 v2, 55, v2
	v_lshlrev_b32_e32 v2, 3, v2
	s_xor_b32 exec_lo, exec_lo, s1
	s_cbranch_execz .LBB0_4
; %bb.3:
	s_clause 0x1
	s_load_dwordx2 s[8:9], s[4:5], 0x10
	s_load_dwordx2 s[10:11], s[4:5], 0x50
	v_mul_lo_u16 v1, v1, 6
	v_sub_nc_u16 v17, v0, v1
	v_and_b32_e32 v16, 0xffff, v17
	v_lshlrev_b32_e32 v15, 3, v16
	v_add_nc_u32_e32 v21, 6, v16
	v_add_nc_u32_e32 v19, 12, v16
	s_waitcnt lgkmcnt(0)
	s_load_dwordx2 s[8:9], s[8:9], 0x8
	s_waitcnt lgkmcnt(0)
	v_mad_u64_u32 v[3:4], null, s8, v18, 0
	v_mad_u64_u32 v[4:5], null, s9, v18, v[4:5]
	v_lshlrev_b64 v[0:1], 3, v[3:4]
	v_add_co_u32 v0, s0, s10, v0
	v_add_co_ci_u32_e64 v1, s0, s11, v1, s0
	v_add_co_u32 v0, s0, v0, v15
	v_add_co_ci_u32_e64 v1, s0, 0, v1, s0
	v_add3_u32 v15, 0, v2, v15
	s_clause 0x8
	global_load_dwordx2 v[3:4], v[0:1], off
	global_load_dwordx2 v[5:6], v[0:1], off offset:48
	global_load_dwordx2 v[7:8], v[0:1], off offset:96
	;; [unrolled: 1-line block ×8, first 2 shown]
	s_waitcnt vmcnt(7)
	ds_write2_b64 v15, v[3:4], v[5:6] offset1:6
	s_waitcnt vmcnt(5)
	ds_write2_b64 v15, v[7:8], v[9:10] offset0:12 offset1:18
	s_waitcnt vmcnt(3)
	ds_write2_b64 v15, v[11:12], v[13:14] offset0:24 offset1:30
	;; [unrolled: 2-line block ×3, first 2 shown]
	s_waitcnt vmcnt(0)
	ds_write_b64 v15, v[0:1] offset:384
.LBB0_4:
	s_or_b32 exec_lo, exec_lo, s1
	v_add_nc_u32_e32 v30, 0, v2
	v_lshlrev_b32_e32 v20, 3, v16
	s_waitcnt lgkmcnt(0)
	s_load_dwordx2 s[2:3], s[2:3], 0x8
	s_waitcnt lgkmcnt(0)
	s_barrier
	buffer_gl0_inv
	v_add_nc_u32_e32 v31, v30, v20
	v_add3_u32 v32, 0, v20, v2
	v_cmp_gt_u16_e64 s0, 3, v17
	v_mov_b32_e32 v44, 3
	ds_read_b64 v[0:1], v31
	ds_read2_b64 v[3:6], v32 offset0:18 offset1:24
	ds_read2_b64 v[7:10], v32 offset0:30 offset1:36
	;; [unrolled: 1-line block ×4, first 2 shown]
	s_waitcnt lgkmcnt(0)
	s_barrier
	buffer_gl0_inv
	v_add_f32_e32 v15, v0, v3
	v_add_f32_e32 v26, v3, v9
	v_sub_f32_e32 v27, v4, v10
	v_add_f32_e32 v29, v4, v10
	v_sub_f32_e32 v33, v3, v9
	v_add_f32_e32 v35, v5, v22
	v_add_f32_e32 v3, v15, v9
	v_fma_f32 v0, -0.5, v26, v0
	v_add_f32_e32 v15, v8, v25
	v_add_f32_e32 v28, v1, v4
	;; [unrolled: 1-line block ×4, first 2 shown]
	v_fmac_f32_e32 v1, -0.5, v29
	v_fma_f32 v9, -0.5, v35, v11
	v_fmamk_f32 v11, v27, 0xbf5db3d7, v0
	v_fmac_f32_e32 v0, 0x3f5db3d7, v27
	v_sub_f32_e32 v27, v8, v25
	v_add_f32_e32 v8, v14, v8
	v_fmac_f32_e32 v14, -0.5, v15
	v_sub_f32_e32 v15, v7, v24
	v_sub_f32_e32 v36, v6, v23
	v_add_f32_e32 v37, v12, v6
	v_sub_f32_e32 v39, v5, v22
	v_add_f32_e32 v4, v28, v10
	v_fma_f32 v10, -0.5, v38, v12
	v_add_f32_e32 v26, v13, v7
	v_add_f32_e32 v40, v7, v24
	v_fmamk_f32 v12, v33, 0x3f5db3d7, v1
	v_fmac_f32_e32 v1, 0xbf5db3d7, v33
	v_add_f32_e32 v8, v8, v25
	v_fmamk_f32 v25, v15, 0x3f5db3d7, v14
	v_fmac_f32_e32 v14, 0xbf5db3d7, v15
	v_lshl_add_u32 v15, v16, 4, v32
	v_add_f32_e32 v5, v34, v22
	v_add_f32_e32 v6, v37, v23
	v_fmamk_f32 v22, v36, 0xbf5db3d7, v9
	v_fmamk_f32 v23, v39, 0x3f5db3d7, v10
	v_mad_i32_i24 v29, v21, 24, v30
	v_add_f32_e32 v7, v26, v24
	v_and_b32_e32 v26, 0xff, v21
	v_add_nc_u32_e32 v33, -3, v16
	v_fma_f32 v13, -0.5, v40, v13
	ds_write2_b64 v15, v[3:4], v[11:12] offset1:1
	ds_write_b64 v15, v[0:1] offset:16
	ds_write2_b64 v29, v[5:6], v[22:23] offset1:1
	v_and_b32_e32 v1, 0xff, v19
	v_mul_lo_u16 v0, 0xab, v26
	v_cndmask_b32_e64 v3, v33, v16, s0
	v_fmac_f32_e32 v9, 0x3f5db3d7, v36
	v_fmac_f32_e32 v10, 0xbf5db3d7, v39
	v_fmamk_f32 v24, v27, 0xbf5db3d7, v13
	v_mad_i32_i24 v22, v19, 24, v30
	v_mul_lo_u16 v4, 0xab, v1
	v_lshrrev_b16 v23, 9, v0
	v_lshlrev_b32_e32 v0, 1, v3
	v_mov_b32_e32 v1, 0
	ds_write_b64 v29, v[9:10] offset:16
	ds_write2_b64 v22, v[7:8], v[24:25] offset1:1
	v_lshrrev_b16 v24, 9, v4
	v_mul_lo_u16 v5, v23, 3
	v_lshlrev_b64 v[0:1], 3, v[0:1]
	v_mov_b32_e32 v8, 4
	v_fmac_f32_e32 v13, 0x3f5db3d7, v27
	v_mul_lo_u16 v4, v24, 3
	v_sub_nc_u16 v42, v21, v5
	v_and_b32_e32 v23, 0xffff, v23
	v_add_co_u32 v0, s1, s6, v0
	v_add_co_ci_u32_e64 v1, s1, s7, v1, s1
	v_sub_nc_u16 v43, v19, v4
	v_lshlrev_b32_sdwa v9, v8, v42 dst_sel:DWORD dst_unused:UNUSED_PAD src0_sel:DWORD src1_sel:BYTE_0
	ds_write_b64 v22, v[13:14] offset:16
	s_waitcnt lgkmcnt(0)
	s_barrier
	buffer_gl0_inv
	global_load_dwordx4 v[4:7], v[0:1], off
	v_lshlrev_b32_sdwa v0, v8, v43 dst_sel:DWORD dst_unused:UNUSED_PAD src0_sel:DWORD src1_sel:BYTE_0
	s_clause 0x1
	global_load_dwordx4 v[8:11], v9, s[6:7]
	global_load_dwordx4 v[12:15], v0, s[6:7]
	v_cmp_lt_u16_e64 s1, 2, v17
	ds_read2_b64 v[25:28], v32 offset0:18 offset1:24
	v_and_b32_e32 v24, 0xffff, v24
	ds_read2_b64 v[38:41], v32 offset0:42 offset1:48
	v_lshlrev_b32_e32 v0, 4, v21
	v_cndmask_b32_e64 v34, 0, 0x48, s1
	v_lshlrev_b32_e32 v1, 4, v19
	v_lshlrev_b32_e32 v3, 3, v3
	v_mad_u32_u24 v23, 0x48, v23, 0
	v_mad_u32_u24 v46, 0x48, v24, 0
	v_add_nc_u32_e32 v45, 0, v34
	ds_read2_b64 v[34:37], v32 offset0:30 offset1:36
	v_lshlrev_b32_sdwa v42, v44, v42 dst_sel:DWORD dst_unused:UNUSED_PAD src0_sel:DWORD src1_sel:BYTE_0
	v_lshlrev_b32_sdwa v43, v44, v43 dst_sel:DWORD dst_unused:UNUSED_PAD src0_sel:DWORD src1_sel:BYTE_0
	v_sub_nc_u32_e32 v24, v29, v0
	v_sub_nc_u32_e32 v0, v22, v1
	v_add3_u32 v29, v45, v3, v2
	v_add3_u32 v47, v23, v42, v2
	v_add3_u32 v46, v46, v43, v2
	ds_read_b64 v[42:43], v31
	ds_read_b64 v[44:45], v24
	;; [unrolled: 1-line block ×3, first 2 shown]
	s_waitcnt vmcnt(0) lgkmcnt(0)
	s_barrier
	buffer_gl0_inv
	v_mul_f32_e32 v0, v5, v26
	v_mul_f32_e32 v1, v5, v25
	;; [unrolled: 1-line block ×12, first 2 shown]
	v_fmac_f32_e32 v0, v4, v25
	v_fma_f32 v1, v4, v26, -v1
	v_fmac_f32_e32 v5, v6, v36
	v_fma_f32 v6, v6, v37, -v7
	;; [unrolled: 2-line block ×6, first 2 shown]
	v_add_f32_e32 v11, v0, v5
	v_sub_f32_e32 v12, v1, v6
	v_add_f32_e32 v13, v43, v1
	v_add_f32_e32 v1, v1, v6
	;; [unrolled: 1-line block ×5, first 2 shown]
	v_sub_f32_e32 v35, v8, v9
	v_add_f32_e32 v36, v3, v8
	v_add_f32_e32 v8, v8, v9
	;; [unrolled: 1-line block ×3, first 2 shown]
	v_sub_f32_e32 v0, v0, v5
	v_add_f32_e32 v14, v44, v22
	v_fma_f32 v42, -0.5, v11, v42
	v_fmac_f32_e32 v43, -0.5, v1
	v_sub_f32_e32 v25, v4, v7
	v_add_f32_e32 v26, v45, v4
	v_sub_f32_e32 v28, v22, v23
	v_fma_f32 v44, -0.5, v15, v44
	v_fmac_f32_e32 v45, -0.5, v27
	v_add_f32_e32 v22, v2, v48
	v_sub_f32_e32 v37, v48, v49
	v_fma_f32 v2, -0.5, v34, v2
	v_fmac_f32_e32 v3, -0.5, v8
	v_add_f32_e32 v4, v10, v5
	v_add_f32_e32 v5, v13, v6
	;; [unrolled: 1-line block ×4, first 2 shown]
	v_fmamk_f32 v8, v12, 0xbf5db3d7, v42
	v_fmamk_f32 v9, v0, 0x3f5db3d7, v43
	v_fmac_f32_e32 v42, 0x3f5db3d7, v12
	v_fmac_f32_e32 v43, 0xbf5db3d7, v0
	v_add_f32_e32 v7, v26, v7
	v_fmamk_f32 v10, v25, 0xbf5db3d7, v44
	v_fmamk_f32 v11, v28, 0x3f5db3d7, v45
	v_fmac_f32_e32 v44, 0x3f5db3d7, v25
	v_fmac_f32_e32 v45, 0xbf5db3d7, v28
	v_add_f32_e32 v22, v22, v49
	v_fmamk_f32 v0, v35, 0xbf5db3d7, v2
	v_fmamk_f32 v1, v37, 0x3f5db3d7, v3
	v_fmac_f32_e32 v2, 0x3f5db3d7, v35
	v_fmac_f32_e32 v3, 0xbf5db3d7, v37
	ds_write2_b64 v29, v[4:5], v[8:9] offset1:3
	ds_write_b64 v29, v[42:43] offset:48
	ds_write2_b64 v47, v[6:7], v[10:11] offset1:3
	ds_write_b64 v47, v[44:45] offset:48
	;; [unrolled: 2-line block ×3, first 2 shown]
	s_waitcnt lgkmcnt(0)
	s_barrier
	buffer_gl0_inv
	ds_read2_b64 v[12:15], v32 offset0:9 offset1:18
	ds_read2_b64 v[8:11], v32 offset0:27 offset1:36
	ds_read_b64 v[26:27], v31
	ds_read_b64 v[28:29], v32 offset:360
                                        ; implicit-def: $vgpr25
                                        ; implicit-def: $vgpr7
	s_and_saveexec_b32 s1, s0
	s_cbranch_execz .LBB0_6
; %bb.5:
	ds_read2_b64 v[0:3], v32 offset0:15 offset1:24
	ds_read2_b64 v[4:7], v32 offset0:33 offset1:42
	ds_read_b64 v[22:23], v24
	ds_read_b64 v[24:25], v32 offset:408
	v_mov_b32_e32 v33, v21
.LBB0_6:
	s_or_b32 exec_lo, exec_lo, s1
	v_mul_u32_u24_e32 v34, 5, v16
	v_lshlrev_b32_e32 v42, 3, v34
	s_clause 0x2
	global_load_dwordx4 v[34:37], v42, s[6:7] offset:48
	global_load_dwordx4 v[38:41], v42, s[6:7] offset:64
	global_load_dwordx2 v[42:43], v42, s[6:7] offset:80
	s_waitcnt vmcnt(0) lgkmcnt(0)
	s_barrier
	buffer_gl0_inv
	v_mul_f32_e32 v44, v35, v13
	v_mul_f32_e32 v35, v35, v12
	;; [unrolled: 1-line block ×10, first 2 shown]
	v_fmac_f32_e32 v44, v34, v12
	v_fma_f32 v12, v34, v13, -v35
	v_fmac_f32_e32 v46, v38, v8
	v_fma_f32 v8, v38, v9, -v39
	;; [unrolled: 2-line block ×4, first 2 shown]
	v_fma_f32 v9, v40, v11, -v41
	v_fmac_f32_e32 v48, v42, v28
	v_sub_f32_e32 v36, v8, v10
	v_add_f32_e32 v37, v12, v8
	v_add_f32_e32 v8, v8, v10
	;; [unrolled: 1-line block ×3, first 2 shown]
	v_sub_f32_e32 v15, v13, v9
	v_add_f32_e32 v28, v27, v13
	v_add_f32_e32 v13, v13, v9
	;; [unrolled: 1-line block ×3, first 2 shown]
	v_sub_f32_e32 v38, v46, v48
	v_fmac_f32_e32 v12, -0.5, v8
	v_add_f32_e32 v11, v26, v45
	v_sub_f32_e32 v29, v45, v47
	v_add_f32_e32 v34, v44, v46
	v_fma_f32 v26, -0.5, v14, v26
	v_add_f32_e32 v14, v28, v9
	v_fmac_f32_e32 v27, -0.5, v13
	v_fmac_f32_e32 v44, -0.5, v35
	v_add_f32_e32 v28, v37, v10
	v_fmamk_f32 v10, v38, 0x3f5db3d7, v12
	v_fmac_f32_e32 v12, 0xbf5db3d7, v38
	v_add_f32_e32 v13, v34, v48
	v_fmamk_f32 v34, v15, 0xbf5db3d7, v26
	v_fmac_f32_e32 v26, 0x3f5db3d7, v15
	v_fmamk_f32 v35, v29, 0x3f5db3d7, v27
	v_fmac_f32_e32 v27, 0xbf5db3d7, v29
	v_fmamk_f32 v15, v36, 0xbf5db3d7, v44
	v_mul_f32_e32 v29, 0xbf5db3d7, v10
	v_mul_f32_e32 v37, 0.5, v10
	v_fmac_f32_e32 v44, 0x3f5db3d7, v36
	v_mul_f32_e32 v36, 0xbf5db3d7, v12
	v_mul_f32_e32 v38, -0.5, v12
	v_add_f32_e32 v11, v11, v47
	v_fmac_f32_e32 v29, 0.5, v15
	v_fmac_f32_e32 v37, 0x3f5db3d7, v15
	v_fmac_f32_e32 v36, -0.5, v44
	v_fmac_f32_e32 v38, 0x3f5db3d7, v44
	v_add_f32_e32 v8, v11, v13
	v_add_f32_e32 v9, v14, v28
	v_sub_f32_e32 v10, v11, v13
	v_add_f32_e32 v12, v34, v29
	v_add_f32_e32 v13, v35, v37
	v_sub_f32_e32 v11, v14, v28
	;; [unrolled: 3-line block ×3, first 2 shown]
	v_sub_f32_e32 v26, v26, v36
	v_sub_f32_e32 v29, v35, v37
	;; [unrolled: 1-line block ×3, first 2 shown]
	ds_write2_b64 v32, v[8:9], v[12:13] offset1:9
	ds_write2_b64 v32, v[14:15], v[10:11] offset0:18 offset1:27
	ds_write2_b64 v32, v[28:29], v[26:27] offset0:36 offset1:45
	s_and_saveexec_b32 s1, s0
	s_cbranch_execz .LBB0_8
; %bb.7:
	v_mul_i32_i24_e32 v8, 5, v33
	v_mov_b32_e32 v9, 0
	v_lshlrev_b64 v[8:9], 3, v[8:9]
	v_add_co_u32 v26, s0, s6, v8
	v_add_co_ci_u32_e64 v27, s0, s7, v9, s0
	s_clause 0x2
	global_load_dwordx4 v[8:11], v[26:27], off offset:48
	global_load_dwordx4 v[12:15], v[26:27], off offset:64
	global_load_dwordx2 v[26:27], v[26:27], off offset:80
	s_waitcnt vmcnt(2)
	v_mul_f32_e32 v28, v2, v11
	s_waitcnt vmcnt(1)
	v_mul_f32_e32 v29, v6, v15
	v_mul_f32_e32 v11, v3, v11
	;; [unrolled: 1-line block ×4, first 2 shown]
	s_waitcnt vmcnt(0)
	v_mul_f32_e32 v35, v25, v27
	v_mul_f32_e32 v13, v4, v13
	;; [unrolled: 1-line block ×5, first 2 shown]
	v_fma_f32 v3, v3, v10, -v28
	v_fma_f32 v7, v7, v14, -v29
	v_fmac_f32_e32 v11, v2, v10
	v_fmac_f32_e32 v33, v0, v8
	;; [unrolled: 1-line block ×4, first 2 shown]
	v_fma_f32 v0, v5, v12, -v13
	v_fma_f32 v2, v25, v26, -v27
	v_fmac_f32_e32 v15, v6, v14
	v_fma_f32 v1, v1, v8, -v9
	v_add_f32_e32 v4, v3, v7
	v_add_f32_e32 v6, v34, v35
	;; [unrolled: 1-line block ×3, first 2 shown]
	v_sub_f32_e32 v5, v11, v15
	v_sub_f32_e32 v10, v34, v35
	v_add_f32_e32 v12, v23, v3
	v_add_f32_e32 v13, v11, v15
	;; [unrolled: 1-line block ×3, first 2 shown]
	v_fma_f32 v23, -0.5, v4, v23
	v_fma_f32 v4, -0.5, v6, v33
	;; [unrolled: 1-line block ×3, first 2 shown]
	v_sub_f32_e32 v8, v0, v2
	v_add_f32_e32 v14, v33, v34
	v_add_f32_e32 v9, v11, v15
	;; [unrolled: 1-line block ×3, first 2 shown]
	v_fmamk_f32 v15, v10, 0xbf5db3d7, v6
	v_fmac_f32_e32 v6, 0x3f5db3d7, v10
	v_sub_f32_e32 v3, v3, v7
	v_add_f32_e32 v7, v12, v7
	v_fma_f32 v12, -0.5, v13, v22
	v_add_f32_e32 v11, v14, v35
	v_fmamk_f32 v14, v8, 0x3f5db3d7, v4
	v_fmac_f32_e32 v4, 0xbf5db3d7, v8
	v_mul_f32_e32 v10, -0.5, v15
	v_mul_f32_e32 v22, 0.5, v6
	v_mul_f32_e32 v6, 0xbf5db3d7, v6
	v_mul_f32_e32 v15, 0xbf5db3d7, v15
	v_add_f32_e32 v2, v0, v2
	v_fmamk_f32 v13, v5, 0xbf5db3d7, v23
	v_fmac_f32_e32 v23, 0x3f5db3d7, v5
	v_fmamk_f32 v8, v3, 0x3f5db3d7, v12
	v_fmac_f32_e32 v12, 0xbf5db3d7, v3
	v_fmac_f32_e32 v10, 0x3f5db3d7, v14
	v_fmac_f32_e32 v22, 0x3f5db3d7, v4
	v_fmac_f32_e32 v6, 0.5, v4
	v_fmac_f32_e32 v15, -0.5, v14
	v_sub_f32_e32 v1, v7, v2
	v_sub_f32_e32 v0, v9, v11
	v_add_f32_e32 v3, v7, v2
	v_add_f32_e32 v2, v9, v11
	v_sub_f32_e32 v5, v13, v10
	v_add_f32_e32 v9, v13, v10
	v_add_f32_e32 v11, v23, v22
	;; [unrolled: 1-line block ×3, first 2 shown]
	v_sub_f32_e32 v4, v8, v15
	v_add_f32_e32 v8, v8, v15
	v_sub_f32_e32 v7, v23, v22
	v_sub_f32_e32 v6, v12, v6
	ds_write2_b64 v32, v[2:3], v[10:11] offset0:6 offset1:15
	ds_write2_b64 v32, v[8:9], v[0:1] offset0:24 offset1:33
	;; [unrolled: 1-line block ×3, first 2 shown]
.LBB0_8:
	s_or_b32 exec_lo, exec_lo, s1
	s_waitcnt lgkmcnt(0)
	s_barrier
	buffer_gl0_inv
	ds_read_b64 v[2:3], v31
	v_sub_nc_u32_e32 v4, v30, v20
	v_cmp_ne_u16_e64 s0, 0, v17
                                        ; implicit-def: $vgpr1
                                        ; implicit-def: $vgpr5
	s_and_saveexec_b32 s1, s0
	s_xor_b32 s0, exec_lo, s1
	s_cbranch_execz .LBB0_10
; %bb.9:
	v_mov_b32_e32 v0, 3
	v_lshlrev_b32_sdwa v0, v0, v17 dst_sel:DWORD dst_unused:UNUSED_PAD src0_sel:DWORD src1_sel:WORD_0
	global_load_dwordx2 v[6:7], v0, s[6:7] offset:408
	ds_read_b64 v[0:1], v4 offset:432
	s_waitcnt lgkmcnt(0)
	v_sub_f32_e32 v5, v2, v0
	v_add_f32_e32 v8, v1, v3
	v_sub_f32_e32 v1, v3, v1
	v_add_f32_e32 v0, v0, v2
	v_mul_f32_e32 v3, 0.5, v5
	v_mul_f32_e32 v2, 0.5, v8
	;; [unrolled: 1-line block ×3, first 2 shown]
	s_waitcnt vmcnt(0)
	v_mul_f32_e32 v5, v7, v3
	v_fma_f32 v8, v2, v7, v1
	v_fma_f32 v1, v2, v7, -v1
	v_fma_f32 v9, 0.5, v0, v5
	v_fma_f32 v0, v0, 0.5, -v5
	v_fma_f32 v5, -v6, v3, v8
	v_fma_f32 v1, -v6, v3, v1
	v_fmac_f32_e32 v9, v6, v2
	v_fma_f32 v0, -v6, v2, v0
                                        ; implicit-def: $vgpr2_vgpr3
	ds_write_b32 v31, v9
.LBB0_10:
	s_andn2_saveexec_b32 s0, s0
	s_cbranch_execz .LBB0_12
; %bb.11:
	ds_read_b32 v1, v30 offset:220
	v_mov_b32_e32 v5, 0
	s_waitcnt lgkmcnt(1)
	v_add_f32_e32 v6, v2, v3
	v_sub_f32_e32 v0, v2, v3
	s_waitcnt lgkmcnt(0)
	v_xor_b32_e32 v2, 0x80000000, v1
	v_mov_b32_e32 v1, v5
	ds_write_b32 v31, v6
	ds_write_b32 v30, v2 offset:220
.LBB0_12:
	s_or_b32 exec_lo, exec_lo, s0
	v_mov_b32_e32 v22, 0
	v_lshl_add_u32 v14, v21, 3, v30
	s_waitcnt lgkmcnt(0)
	v_lshlrev_b64 v[2:3], 3, v[21:22]
	v_mov_b32_e32 v20, v22
	v_mov_b32_e32 v17, v22
	v_add_co_u32 v2, s0, s6, v2
	v_add_co_ci_u32_e64 v3, s0, s7, v3, s0
	global_load_dwordx2 v[6:7], v[2:3], off offset:408
	v_lshlrev_b64 v[2:3], 3, v[19:20]
	v_add_co_u32 v2, s0, s6, v2
	v_add_co_ci_u32_e64 v3, s0, s7, v3, s0
	s_add_u32 s0, s6, 0x198
	s_addc_u32 s1, s7, 0
	global_load_dwordx2 v[8:9], v[2:3], off offset:408
	v_lshlrev_b64 v[2:3], 3, v[16:17]
	v_add_co_u32 v2, s0, s0, v2
	v_add_co_ci_u32_e64 v3, s0, s1, v3, s0
	s_mov_b32 s1, exec_lo
	global_load_dwordx2 v[10:11], v[2:3], off offset:144
	ds_write_b32 v31, v5 offset:4
	ds_write_b64 v4, v[0:1] offset:432
	ds_read_b64 v[0:1], v4 offset:384
	ds_read_b64 v[12:13], v14
	s_waitcnt lgkmcnt(0)
	v_sub_f32_e32 v5, v12, v0
	v_add_f32_e32 v15, v13, v1
	v_sub_f32_e32 v1, v13, v1
	v_add_f32_e32 v12, v12, v0
	v_mul_f32_e32 v5, 0.5, v5
	v_mul_f32_e32 v13, 0.5, v15
	;; [unrolled: 1-line block ×3, first 2 shown]
	s_waitcnt vmcnt(2)
	v_mul_f32_e32 v15, v7, v5
	v_fma_f32 v17, v13, v7, v1
	v_fma_f32 v7, v13, v7, -v1
	v_fma_f32 v0, 0.5, v12, v15
	v_fma_f32 v12, v12, 0.5, -v15
	v_fma_f32 v1, -v6, v5, v17
	v_fma_f32 v7, -v6, v5, v7
	v_fmac_f32_e32 v0, v6, v13
	v_fma_f32 v6, -v6, v13, v12
	v_lshl_add_u32 v12, v19, 3, v30
	ds_write_b64 v14, v[0:1]
	ds_write_b64 v4, v[6:7] offset:384
	ds_read_b64 v[0:1], v12
	ds_read_b64 v[5:6], v4 offset:336
	s_waitcnt lgkmcnt(0)
	v_sub_f32_e32 v7, v0, v5
	v_add_f32_e32 v13, v1, v6
	v_sub_f32_e32 v1, v1, v6
	v_add_f32_e32 v5, v0, v5
	v_mul_f32_e32 v6, 0.5, v7
	v_mul_f32_e32 v7, 0.5, v13
	;; [unrolled: 1-line block ×3, first 2 shown]
	s_waitcnt vmcnt(1)
	v_mul_f32_e32 v13, v9, v6
	v_fma_f32 v14, v7, v9, v1
	v_fma_f32 v9, v7, v9, -v1
	v_fma_f32 v0, 0.5, v5, v13
	v_fma_f32 v5, v5, 0.5, -v13
	v_fma_f32 v1, -v8, v6, v14
	v_fma_f32 v6, -v8, v6, v9
	v_fmac_f32_e32 v0, v8, v7
	v_fma_f32 v5, -v8, v7, v5
	ds_write_b64 v12, v[0:1]
	ds_write_b64 v4, v[5:6] offset:336
	ds_read_b64 v[0:1], v31 offset:144
	ds_read_b64 v[5:6], v4 offset:288
	s_waitcnt lgkmcnt(0)
	v_sub_f32_e32 v7, v0, v5
	v_add_f32_e32 v8, v1, v6
	v_sub_f32_e32 v1, v1, v6
	v_add_f32_e32 v5, v0, v5
	v_mul_f32_e32 v6, 0.5, v7
	v_mul_f32_e32 v7, 0.5, v8
	;; [unrolled: 1-line block ×3, first 2 shown]
	s_waitcnt vmcnt(0)
	v_mul_f32_e32 v8, v11, v6
	v_fma_f32 v9, v7, v11, v1
	v_fma_f32 v11, v7, v11, -v1
	v_fma_f32 v0, 0.5, v5, v8
	v_fma_f32 v5, v5, 0.5, -v8
	v_or_b32_e32 v8, 24, v16
	v_fma_f32 v1, -v10, v6, v9
	v_fma_f32 v6, -v10, v6, v11
	v_fmac_f32_e32 v0, v10, v7
	v_fma_f32 v5, -v10, v7, v5
	ds_write_b64 v31, v[0:1] offset:144
	ds_write_b64 v4, v[5:6] offset:288
	v_cmpx_gt_u32_e32 27, v8
	s_cbranch_execz .LBB0_14
; %bb.13:
	global_load_dwordx2 v[0:1], v[2:3], off offset:192
	ds_read_b64 v[2:3], v31 offset:192
	ds_read_b64 v[5:6], v4 offset:240
	s_waitcnt lgkmcnt(0)
	v_sub_f32_e32 v7, v2, v5
	v_add_f32_e32 v8, v3, v6
	v_sub_f32_e32 v3, v3, v6
	v_add_f32_e32 v2, v2, v5
	v_mul_f32_e32 v6, 0.5, v7
	v_mul_f32_e32 v7, 0.5, v8
	;; [unrolled: 1-line block ×3, first 2 shown]
	s_waitcnt vmcnt(0)
	v_mul_f32_e32 v5, v1, v6
	v_fma_f32 v8, v7, v1, v3
	v_fma_f32 v3, v7, v1, -v3
	v_fma_f32 v1, 0.5, v2, v5
	v_fma_f32 v5, v2, 0.5, -v5
	v_fma_f32 v2, -v0, v6, v8
	v_fma_f32 v6, -v0, v6, v3
	v_fmac_f32_e32 v1, v0, v7
	v_fma_f32 v5, -v0, v7, v5
	ds_write_b64 v31, v[1:2] offset:192
	ds_write_b64 v4, v[5:6] offset:240
.LBB0_14:
	s_or_b32 exec_lo, exec_lo, s1
	s_waitcnt lgkmcnt(0)
	s_barrier
	buffer_gl0_inv
	s_and_saveexec_b32 s0, vcc_lo
	s_cbranch_execz .LBB0_17
; %bb.15:
	v_mad_u64_u32 v[0:1], null, s2, v18, 0
	v_lshl_add_u32 v2, v16, 3, v30
	s_load_dwordx2 s[0:1], s[4:5], 0x58
	v_mov_b32_e32 v17, 0
	v_add_nc_u32_e32 v20, 12, v16
	v_add_nc_u32_e32 v22, 18, v16
	ds_read2_b64 v[3:6], v2 offset1:6
	v_mad_u64_u32 v[7:8], null, s3, v18, v[1:2]
	v_add_nc_u32_e32 v18, 6, v16
	v_mov_b32_e32 v19, v17
	v_lshlrev_b64 v[26:27], 3, v[16:17]
	v_mov_b32_e32 v21, v17
	v_mov_b32_e32 v23, v17
	v_add_nc_u32_e32 v24, 24, v16
	v_mov_b32_e32 v1, v7
	v_lshlrev_b64 v[18:19], 3, v[18:19]
	ds_read2_b64 v[7:10], v2 offset0:12 offset1:18
	v_lshlrev_b64 v[20:21], 3, v[20:21]
	v_mov_b32_e32 v25, v17
	v_lshlrev_b64 v[0:1], 3, v[0:1]
	ds_read2_b64 v[11:14], v2 offset0:24 offset1:30
	v_lshlrev_b64 v[22:23], 3, v[22:23]
	v_lshlrev_b64 v[24:25], 3, v[24:25]
	s_waitcnt lgkmcnt(0)
	v_add_co_u32 v0, vcc_lo, s0, v0
	v_add_co_ci_u32_e32 v1, vcc_lo, s1, v1, vcc_lo
	v_add_co_u32 v26, vcc_lo, v0, v26
	v_add_co_ci_u32_e32 v27, vcc_lo, v1, v27, vcc_lo
	;; [unrolled: 2-line block ×4, first 2 shown]
	global_store_dwordx2 v[26:27], v[3:4], off
	v_add_co_u32 v3, vcc_lo, v0, v22
	v_add_co_ci_u32_e32 v4, vcc_lo, v1, v23, vcc_lo
	v_add_co_u32 v22, vcc_lo, v0, v24
	v_add_co_ci_u32_e32 v23, vcc_lo, v1, v25, vcc_lo
	v_add_nc_u32_e32 v24, 30, v16
	v_mov_b32_e32 v25, v17
	global_store_dwordx2 v[18:19], v[5:6], off
	global_store_dwordx2 v[20:21], v[7:8], off
	;; [unrolled: 1-line block ×4, first 2 shown]
	v_add_nc_u32_e32 v7, 36, v16
	v_mov_b32_e32 v8, v17
	v_add_nc_u32_e32 v9, 42, v16
	v_lshlrev_b64 v[3:4], 3, v[24:25]
	v_mov_b32_e32 v10, v17
	v_add_nc_u32_e32 v20, 48, v16
	v_lshlrev_b64 v[7:8], 3, v[7:8]
	v_mov_b32_e32 v21, v17
	ds_read_b64 v[18:19], v2 offset:384
	v_add_co_u32 v11, vcc_lo, v0, v3
	v_add_co_ci_u32_e32 v12, vcc_lo, v1, v4, vcc_lo
	ds_read2_b64 v[3:6], v2 offset0:36 offset1:42
	v_lshlrev_b64 v[9:10], 3, v[9:10]
	v_add_co_u32 v7, vcc_lo, v0, v7
	v_lshlrev_b64 v[20:21], 3, v[20:21]
	v_add_co_ci_u32_e32 v8, vcc_lo, v1, v8, vcc_lo
	v_add_co_u32 v9, vcc_lo, v0, v9
	v_add_co_ci_u32_e32 v10, vcc_lo, v1, v10, vcc_lo
	v_add_co_u32 v20, vcc_lo, v0, v20
	v_add_co_ci_u32_e32 v21, vcc_lo, v1, v21, vcc_lo
	v_cmp_eq_u32_e32 vcc_lo, 5, v16
	global_store_dwordx2 v[11:12], v[13:14], off
	s_waitcnt lgkmcnt(0)
	global_store_dwordx2 v[7:8], v[3:4], off
	global_store_dwordx2 v[9:10], v[5:6], off
	;; [unrolled: 1-line block ×3, first 2 shown]
	s_and_b32 exec_lo, exec_lo, vcc_lo
	s_cbranch_execz .LBB0_17
; %bb.16:
	ds_read_b64 v[2:3], v2 offset:392
	s_waitcnt lgkmcnt(0)
	global_store_dwordx2 v[0:1], v[2:3], off offset:432
.LBB0_17:
	s_endpgm
	.section	.rodata,"a",@progbits
	.p2align	6, 0x0
	.amdhsa_kernel fft_rtc_back_len54_factors_3_3_6_wgs_60_tpt_6_dim1_sp_op_CI_CI_unitstride_sbrr_R2C_dirReg
		.amdhsa_group_segment_fixed_size 0
		.amdhsa_private_segment_fixed_size 0
		.amdhsa_kernarg_size 96
		.amdhsa_user_sgpr_count 6
		.amdhsa_user_sgpr_private_segment_buffer 1
		.amdhsa_user_sgpr_dispatch_ptr 0
		.amdhsa_user_sgpr_queue_ptr 0
		.amdhsa_user_sgpr_kernarg_segment_ptr 1
		.amdhsa_user_sgpr_dispatch_id 0
		.amdhsa_user_sgpr_flat_scratch_init 0
		.amdhsa_user_sgpr_private_segment_size 0
		.amdhsa_wavefront_size32 1
		.amdhsa_uses_dynamic_stack 0
		.amdhsa_system_sgpr_private_segment_wavefront_offset 0
		.amdhsa_system_sgpr_workgroup_id_x 1
		.amdhsa_system_sgpr_workgroup_id_y 0
		.amdhsa_system_sgpr_workgroup_id_z 0
		.amdhsa_system_sgpr_workgroup_info 0
		.amdhsa_system_vgpr_workitem_id 0
		.amdhsa_next_free_vgpr 50
		.amdhsa_next_free_sgpr 12
		.amdhsa_reserve_vcc 1
		.amdhsa_reserve_flat_scratch 0
		.amdhsa_float_round_mode_32 0
		.amdhsa_float_round_mode_16_64 0
		.amdhsa_float_denorm_mode_32 3
		.amdhsa_float_denorm_mode_16_64 3
		.amdhsa_dx10_clamp 1
		.amdhsa_ieee_mode 1
		.amdhsa_fp16_overflow 0
		.amdhsa_workgroup_processor_mode 1
		.amdhsa_memory_ordered 1
		.amdhsa_forward_progress 0
		.amdhsa_shared_vgpr_count 0
		.amdhsa_exception_fp_ieee_invalid_op 0
		.amdhsa_exception_fp_denorm_src 0
		.amdhsa_exception_fp_ieee_div_zero 0
		.amdhsa_exception_fp_ieee_overflow 0
		.amdhsa_exception_fp_ieee_underflow 0
		.amdhsa_exception_fp_ieee_inexact 0
		.amdhsa_exception_int_div_zero 0
	.end_amdhsa_kernel
	.text
.Lfunc_end0:
	.size	fft_rtc_back_len54_factors_3_3_6_wgs_60_tpt_6_dim1_sp_op_CI_CI_unitstride_sbrr_R2C_dirReg, .Lfunc_end0-fft_rtc_back_len54_factors_3_3_6_wgs_60_tpt_6_dim1_sp_op_CI_CI_unitstride_sbrr_R2C_dirReg
                                        ; -- End function
	.section	.AMDGPU.csdata,"",@progbits
; Kernel info:
; codeLenInByte = 4076
; NumSgprs: 14
; NumVgprs: 50
; ScratchSize: 0
; MemoryBound: 0
; FloatMode: 240
; IeeeMode: 1
; LDSByteSize: 0 bytes/workgroup (compile time only)
; SGPRBlocks: 1
; VGPRBlocks: 6
; NumSGPRsForWavesPerEU: 14
; NumVGPRsForWavesPerEU: 50
; Occupancy: 16
; WaveLimiterHint : 1
; COMPUTE_PGM_RSRC2:SCRATCH_EN: 0
; COMPUTE_PGM_RSRC2:USER_SGPR: 6
; COMPUTE_PGM_RSRC2:TRAP_HANDLER: 0
; COMPUTE_PGM_RSRC2:TGID_X_EN: 1
; COMPUTE_PGM_RSRC2:TGID_Y_EN: 0
; COMPUTE_PGM_RSRC2:TGID_Z_EN: 0
; COMPUTE_PGM_RSRC2:TIDIG_COMP_CNT: 0
	.text
	.p2alignl 6, 3214868480
	.fill 48, 4, 3214868480
	.type	__hip_cuid_cbd68d4eeccec0e9,@object ; @__hip_cuid_cbd68d4eeccec0e9
	.section	.bss,"aw",@nobits
	.globl	__hip_cuid_cbd68d4eeccec0e9
__hip_cuid_cbd68d4eeccec0e9:
	.byte	0                               ; 0x0
	.size	__hip_cuid_cbd68d4eeccec0e9, 1

	.ident	"AMD clang version 19.0.0git (https://github.com/RadeonOpenCompute/llvm-project roc-6.4.0 25133 c7fe45cf4b819c5991fe208aaa96edf142730f1d)"
	.section	".note.GNU-stack","",@progbits
	.addrsig
	.addrsig_sym __hip_cuid_cbd68d4eeccec0e9
	.amdgpu_metadata
---
amdhsa.kernels:
  - .args:
      - .actual_access:  read_only
        .address_space:  global
        .offset:         0
        .size:           8
        .value_kind:     global_buffer
      - .actual_access:  read_only
        .address_space:  global
        .offset:         8
        .size:           8
        .value_kind:     global_buffer
      - .actual_access:  read_only
        .address_space:  global
        .offset:         16
        .size:           8
        .value_kind:     global_buffer
      - .actual_access:  read_only
        .address_space:  global
        .offset:         24
        .size:           8
        .value_kind:     global_buffer
      - .offset:         32
        .size:           8
        .value_kind:     by_value
      - .actual_access:  read_only
        .address_space:  global
        .offset:         40
        .size:           8
        .value_kind:     global_buffer
      - .actual_access:  read_only
        .address_space:  global
        .offset:         48
        .size:           8
        .value_kind:     global_buffer
      - .offset:         56
        .size:           4
        .value_kind:     by_value
      - .actual_access:  read_only
        .address_space:  global
        .offset:         64
        .size:           8
        .value_kind:     global_buffer
      - .actual_access:  read_only
        .address_space:  global
        .offset:         72
        .size:           8
        .value_kind:     global_buffer
      - .actual_access:  read_only
        .address_space:  global
        .offset:         80
        .size:           8
        .value_kind:     global_buffer
      - .actual_access:  write_only
        .address_space:  global
        .offset:         88
        .size:           8
        .value_kind:     global_buffer
    .group_segment_fixed_size: 0
    .kernarg_segment_align: 8
    .kernarg_segment_size: 96
    .language:       OpenCL C
    .language_version:
      - 2
      - 0
    .max_flat_workgroup_size: 60
    .name:           fft_rtc_back_len54_factors_3_3_6_wgs_60_tpt_6_dim1_sp_op_CI_CI_unitstride_sbrr_R2C_dirReg
    .private_segment_fixed_size: 0
    .sgpr_count:     14
    .sgpr_spill_count: 0
    .symbol:         fft_rtc_back_len54_factors_3_3_6_wgs_60_tpt_6_dim1_sp_op_CI_CI_unitstride_sbrr_R2C_dirReg.kd
    .uniform_work_group_size: 1
    .uses_dynamic_stack: false
    .vgpr_count:     50
    .vgpr_spill_count: 0
    .wavefront_size: 32
    .workgroup_processor_mode: 1
amdhsa.target:   amdgcn-amd-amdhsa--gfx1030
amdhsa.version:
  - 1
  - 2
...

	.end_amdgpu_metadata
